;; amdgpu-corpus repo=zjin-lcf/HeCBench kind=compiled arch=gfx906 opt=O3
	.amdgcn_target "amdgcn-amd-amdhsa--gfx906"
	.amdhsa_code_object_version 6
	.text
	.protected	_Z17IntegrationKernelPVfS0_S0_S0_S0_ffffi ; -- Begin function _Z17IntegrationKernelPVfS0_S0_S0_S0_ffffi
	.globl	_Z17IntegrationKernelPVfS0_S0_S0_S0_ffffi
	.p2align	8
	.type	_Z17IntegrationKernelPVfS0_S0_S0_S0_ffffi,@function
_Z17IntegrationKernelPVfS0_S0_S0_S0_ffffi: ; @_Z17IntegrationKernelPVfS0_S0_S0_S0_ffffi
; %bb.0:
	s_load_dword s0, s[4:5], 0x4c
	s_load_dword s16, s[4:5], 0x38
	s_waitcnt lgkmcnt(0)
	s_and_b32 s0, s0, 0xffff
	s_mul_i32 s6, s6, s0
	v_add_u32_e32 v0, s6, v0
	v_cmp_gt_i32_e32 vcc, s16, v0
	s_and_saveexec_b64 s[0:1], vcc
	s_cbranch_execz .LBB0_2
; %bb.1:
	s_load_dwordx2 s[6:7], s[4:5], 0x20
	s_load_dwordx8 s[8:15], s[4:5], 0x0
	s_load_dwordx4 s[0:3], s[4:5], 0x28
	v_ashrrev_i32_e32 v1, 31, v0
	v_lshlrev_b64 v[10:11], 2, v[0:1]
	s_waitcnt lgkmcnt(0)
	v_mov_b32_e32 v1, s7
	v_add_co_u32_e32 v0, vcc, s6, v10
	s_ashr_i32 s17, s16, 31
	v_addc_co_u32_e32 v1, vcc, v1, v11, vcc
	s_lshl_b64 s[4:5], s[16:17], 2
	v_mov_b32_e32 v15, s5
	v_add_co_u32_e32 v2, vcc, s4, v0
	v_addc_co_u32_e32 v3, vcc, v1, v15, vcc
	v_mov_b32_e32 v5, s15
	v_add_co_u32_e32 v4, vcc, s14, v10
	v_addc_co_u32_e32 v5, vcc, v5, v11, vcc
	;; [unrolled: 3-line block ×4, first 2 shown]
	v_add_co_u32_e32 v12, vcc, s4, v4
	flat_load_dword v14, v[0:1] glc
	s_waitcnt vmcnt(0)
	flat_load_dword v22, v[2:3] glc
	s_waitcnt vmcnt(0)
	v_addc_co_u32_e32 v13, vcc, v5, v15, vcc
	flat_load_dword v23, v[4:5] glc
	s_waitcnt vmcnt(0)
	flat_load_dword v24, v[12:13] glc
	s_waitcnt vmcnt(0)
	;; [unrolled: 2-line block ×4, first 2 shown]
	v_mov_b32_e32 v19, s9
	s_waitcnt lgkmcnt(0)
	v_div_scale_f32 v16, s[6:7], s1, s1, v26
	v_div_scale_f32 v17, vcc, v26, s1, v26
	s_mov_b32 s6, 0x3c23d70a
	v_rcp_f32_e32 v18, v16
	v_fma_f32 v20, -v16, v18, 1.0
	v_fmac_f32_e32 v18, v20, v18
	v_mul_f32_e32 v20, v17, v18
	v_fma_f32 v21, -v16, v20, v17
	v_fmac_f32_e32 v20, v21, v18
	v_fma_f32 v16, -v16, v20, v17
	v_div_fmas_f32 v27, v16, v18, v20
	v_add_co_u32_e32 v10, vcc, s8, v10
	v_addc_co_u32_e32 v11, vcc, v19, v11, vcc
	v_add_co_u32_e32 v16, vcc, s4, v6
	v_addc_co_u32_e32 v17, vcc, v7, v15, vcc
	;; [unrolled: 2-line block ×4, first 2 shown]
	v_div_fixup_f32 v26, v27, s1, v26
	v_fma_f32 v25, s3, v25, -v26
	v_xor_b32_e32 v26, v25, v14
	v_add_f32_e32 v27, 0x3e4ccccd, v23
	v_mul_f32_e32 v23, 0x3f4ccccd, v23
	v_cmp_gt_i32_e32 vcc, 0, v26
	v_cndmask_b32_e32 v23, v23, v27, vcc
	v_mov_b32_e32 v15, 0x3c23d70a
	v_cmp_ngt_f32_e32 vcc, s6, v23
	v_cndmask_b32_e32 v23, v15, v23, vcc
	v_mul_f32_e32 v27, s0, v23
	v_mul_f32_e32 v25, v25, v27
	flat_load_dword v26, v[16:17] glc
	s_waitcnt vmcnt(0)
	flat_load_dword v27, v[18:19] glc
	s_waitcnt vmcnt(0)
	v_fma_f32 v14, s2, v14, -v25
	flat_load_dword v25, v[10:11] glc
	s_waitcnt vmcnt(0) lgkmcnt(0)
	v_add_f32_e32 v25, v25, v14
	flat_store_dword v[10:11], v25
	s_waitcnt vmcnt(0)
	v_div_scale_f32 v10, s[4:5], s1, s1, v27
	v_rcp_f32_e32 v11, v10
	v_fma_f32 v25, -v10, v11, 1.0
	v_fmac_f32_e32 v11, v25, v11
	v_div_scale_f32 v25, vcc, v27, s1, v27
	v_mul_f32_e32 v28, v25, v11
	v_fma_f32 v29, -v10, v28, v25
	v_fmac_f32_e32 v28, v29, v11
	v_fma_f32 v10, -v10, v28, v25
	v_div_fmas_f32 v10, v10, v11, v28
	flat_load_dword v11, v[20:21] glc
	s_waitcnt vmcnt(0)
	v_mov_b32_e32 v25, 0
	v_div_fixup_f32 v10, v10, s1, v27
	v_fma_f32 v10, s3, v26, -v10
	v_xor_b32_e32 v26, v10, v22
	v_add_f32_e32 v27, 0x3e4ccccd, v24
	v_mul_f32_e32 v24, 0x3f4ccccd, v24
	v_cmp_gt_i32_e32 vcc, 0, v26
	v_cndmask_b32_e32 v24, v24, v27, vcc
	v_cmp_ngt_f32_e32 vcc, s6, v24
	v_cndmask_b32_e32 v15, v15, v24, vcc
	v_mul_f32_e32 v24, s0, v15
	v_mul_f32_e32 v10, v10, v24
	v_fma_f32 v10, s2, v22, -v10
	s_waitcnt lgkmcnt(0)
	v_add_f32_e32 v11, v11, v10
	flat_store_dword v[20:21], v11
	s_waitcnt vmcnt(0)
	flat_store_dword v[6:7], v25
	s_waitcnt vmcnt(0)
	;; [unrolled: 2-line block ×9, first 2 shown]
.LBB0_2:
	s_endpgm
	.section	.rodata,"a",@progbits
	.p2align	6, 0x0
	.amdhsa_kernel _Z17IntegrationKernelPVfS0_S0_S0_S0_ffffi
		.amdhsa_group_segment_fixed_size 0
		.amdhsa_private_segment_fixed_size 0
		.amdhsa_kernarg_size 320
		.amdhsa_user_sgpr_count 6
		.amdhsa_user_sgpr_private_segment_buffer 1
		.amdhsa_user_sgpr_dispatch_ptr 0
		.amdhsa_user_sgpr_queue_ptr 0
		.amdhsa_user_sgpr_kernarg_segment_ptr 1
		.amdhsa_user_sgpr_dispatch_id 0
		.amdhsa_user_sgpr_flat_scratch_init 0
		.amdhsa_user_sgpr_private_segment_size 0
		.amdhsa_uses_dynamic_stack 0
		.amdhsa_system_sgpr_private_segment_wavefront_offset 0
		.amdhsa_system_sgpr_workgroup_id_x 1
		.amdhsa_system_sgpr_workgroup_id_y 0
		.amdhsa_system_sgpr_workgroup_id_z 0
		.amdhsa_system_sgpr_workgroup_info 0
		.amdhsa_system_vgpr_workitem_id 0
		.amdhsa_next_free_vgpr 30
		.amdhsa_next_free_sgpr 18
		.amdhsa_reserve_vcc 1
		.amdhsa_reserve_flat_scratch 0
		.amdhsa_float_round_mode_32 0
		.amdhsa_float_round_mode_16_64 0
		.amdhsa_float_denorm_mode_32 3
		.amdhsa_float_denorm_mode_16_64 3
		.amdhsa_dx10_clamp 1
		.amdhsa_ieee_mode 1
		.amdhsa_fp16_overflow 0
		.amdhsa_exception_fp_ieee_invalid_op 0
		.amdhsa_exception_fp_denorm_src 0
		.amdhsa_exception_fp_ieee_div_zero 0
		.amdhsa_exception_fp_ieee_overflow 0
		.amdhsa_exception_fp_ieee_underflow 0
		.amdhsa_exception_fp_ieee_inexact 0
		.amdhsa_exception_int_div_zero 0
	.end_amdhsa_kernel
	.text
.Lfunc_end0:
	.size	_Z17IntegrationKernelPVfS0_S0_S0_S0_ffffi, .Lfunc_end0-_Z17IntegrationKernelPVfS0_S0_S0_S0_ffffi
                                        ; -- End function
	.set _Z17IntegrationKernelPVfS0_S0_S0_S0_ffffi.num_vgpr, 30
	.set _Z17IntegrationKernelPVfS0_S0_S0_S0_ffffi.num_agpr, 0
	.set _Z17IntegrationKernelPVfS0_S0_S0_S0_ffffi.numbered_sgpr, 18
	.set _Z17IntegrationKernelPVfS0_S0_S0_S0_ffffi.num_named_barrier, 0
	.set _Z17IntegrationKernelPVfS0_S0_S0_S0_ffffi.private_seg_size, 0
	.set _Z17IntegrationKernelPVfS0_S0_S0_S0_ffffi.uses_vcc, 1
	.set _Z17IntegrationKernelPVfS0_S0_S0_S0_ffffi.uses_flat_scratch, 0
	.set _Z17IntegrationKernelPVfS0_S0_S0_S0_ffffi.has_dyn_sized_stack, 0
	.set _Z17IntegrationKernelPVfS0_S0_S0_S0_ffffi.has_recursion, 0
	.set _Z17IntegrationKernelPVfS0_S0_S0_S0_ffffi.has_indirect_call, 0
	.section	.AMDGPU.csdata,"",@progbits
; Kernel info:
; codeLenInByte = 744
; TotalNumSgprs: 22
; NumVgprs: 30
; ScratchSize: 0
; MemoryBound: 0
; FloatMode: 240
; IeeeMode: 1
; LDSByteSize: 0 bytes/workgroup (compile time only)
; SGPRBlocks: 2
; VGPRBlocks: 7
; NumSGPRsForWavesPerEU: 22
; NumVGPRsForWavesPerEU: 30
; Occupancy: 8
; WaveLimiterHint : 0
; COMPUTE_PGM_RSRC2:SCRATCH_EN: 0
; COMPUTE_PGM_RSRC2:USER_SGPR: 6
; COMPUTE_PGM_RSRC2:TRAP_HANDLER: 0
; COMPUTE_PGM_RSRC2:TGID_X_EN: 1
; COMPUTE_PGM_RSRC2:TGID_Y_EN: 0
; COMPUTE_PGM_RSRC2:TGID_Z_EN: 0
; COMPUTE_PGM_RSRC2:TIDIG_COMP_CNT: 0
	.section	.AMDGPU.gpr_maximums,"",@progbits
	.set amdgpu.max_num_vgpr, 0
	.set amdgpu.max_num_agpr, 0
	.set amdgpu.max_num_sgpr, 0
	.section	.AMDGPU.csdata,"",@progbits
	.type	__hip_cuid_7723fad4853fcac7,@object ; @__hip_cuid_7723fad4853fcac7
	.section	.bss,"aw",@nobits
	.globl	__hip_cuid_7723fad4853fcac7
__hip_cuid_7723fad4853fcac7:
	.byte	0                               ; 0x0
	.size	__hip_cuid_7723fad4853fcac7, 1

	.ident	"AMD clang version 22.0.0git (https://github.com/RadeonOpenCompute/llvm-project roc-7.2.4 26084 f58b06dce1f9c15707c5f808fd002e18c2accf7e)"
	.section	".note.GNU-stack","",@progbits
	.addrsig
	.addrsig_sym __hip_cuid_7723fad4853fcac7
	.amdgpu_metadata
---
amdhsa.kernels:
  - .args:
      - .address_space:  global
        .offset:         0
        .size:           8
        .value_kind:     global_buffer
      - .address_space:  global
        .offset:         8
        .size:           8
        .value_kind:     global_buffer
      - .address_space:  global
        .offset:         16
        .size:           8
        .value_kind:     global_buffer
      - .address_space:  global
        .offset:         24
        .size:           8
        .value_kind:     global_buffer
      - .address_space:  global
        .offset:         32
        .size:           8
        .value_kind:     global_buffer
      - .offset:         40
        .size:           4
        .value_kind:     by_value
      - .offset:         44
        .size:           4
        .value_kind:     by_value
      - .offset:         48
        .size:           4
        .value_kind:     by_value
      - .offset:         52
        .size:           4
        .value_kind:     by_value
      - .offset:         56
        .size:           4
        .value_kind:     by_value
      - .offset:         64
        .size:           4
        .value_kind:     hidden_block_count_x
      - .offset:         68
        .size:           4
        .value_kind:     hidden_block_count_y
      - .offset:         72
        .size:           4
        .value_kind:     hidden_block_count_z
      - .offset:         76
        .size:           2
        .value_kind:     hidden_group_size_x
      - .offset:         78
        .size:           2
        .value_kind:     hidden_group_size_y
      - .offset:         80
        .size:           2
        .value_kind:     hidden_group_size_z
      - .offset:         82
        .size:           2
        .value_kind:     hidden_remainder_x
      - .offset:         84
        .size:           2
        .value_kind:     hidden_remainder_y
      - .offset:         86
        .size:           2
        .value_kind:     hidden_remainder_z
      - .offset:         104
        .size:           8
        .value_kind:     hidden_global_offset_x
      - .offset:         112
        .size:           8
        .value_kind:     hidden_global_offset_y
      - .offset:         120
        .size:           8
        .value_kind:     hidden_global_offset_z
      - .offset:         128
        .size:           2
        .value_kind:     hidden_grid_dims
    .group_segment_fixed_size: 0
    .kernarg_segment_align: 8
    .kernarg_segment_size: 320
    .language:       OpenCL C
    .language_version:
      - 2
      - 0
    .max_flat_workgroup_size: 1024
    .name:           _Z17IntegrationKernelPVfS0_S0_S0_S0_ffffi
    .private_segment_fixed_size: 0
    .sgpr_count:     22
    .sgpr_spill_count: 0
    .symbol:         _Z17IntegrationKernelPVfS0_S0_S0_S0_ffffi.kd
    .uniform_work_group_size: 1
    .uses_dynamic_stack: false
    .vgpr_count:     30
    .vgpr_spill_count: 0
    .wavefront_size: 64
amdhsa.target:   amdgcn-amd-amdhsa--gfx906
amdhsa.version:
  - 1
  - 2
...

	.end_amdgpu_metadata
